;; amdgpu-corpus repo=ROCm/rocFFT kind=compiled arch=gfx906 opt=O3
	.text
	.amdgcn_target "amdgcn-amd-amdhsa--gfx906"
	.amdhsa_code_object_version 6
	.protected	bluestein_single_back_len240_dim1_dp_op_CI_CI ; -- Begin function bluestein_single_back_len240_dim1_dp_op_CI_CI
	.globl	bluestein_single_back_len240_dim1_dp_op_CI_CI
	.p2align	8
	.type	bluestein_single_back_len240_dim1_dp_op_CI_CI,@function
bluestein_single_back_len240_dim1_dp_op_CI_CI: ; @bluestein_single_back_len240_dim1_dp_op_CI_CI
; %bb.0:
	s_load_dwordx4 s[0:3], s[4:5], 0x28
	v_mul_u32_u24_e32 v1, 0x556, v0
	v_lshrrev_b32_e32 v1, 16, v1
	v_lshl_add_u32 v68, s6, 1, v1
	v_mov_b32_e32 v69, 0
	s_waitcnt lgkmcnt(0)
	v_cmp_gt_u64_e32 vcc, s[0:1], v[68:69]
	s_and_saveexec_b64 s[0:1], vcc
	s_cbranch_execz .LBB0_23
; %bb.1:
	s_load_dwordx2 s[14:15], s[4:5], 0x0
	s_load_dwordx2 s[12:13], s[4:5], 0x38
	v_mul_lo_u16_e32 v2, 48, v1
	v_sub_u16_e32 v85, v0, v2
	v_and_b32_e32 v0, 1, v1
	v_mov_b32_e32 v1, 0xf0
	v_cmp_eq_u32_e32 vcc, 1, v0
	v_cndmask_b32_e32 v88, 0, v1, vcc
	v_cmp_gt_u16_e32 vcc, 30, v85
	v_lshlrev_b32_e32 v86, 4, v85
	v_lshlrev_b32_e32 v87, 4, v88
	s_and_saveexec_b64 s[6:7], vcc
	s_cbranch_execz .LBB0_3
; %bb.2:
	s_load_dwordx2 s[0:1], s[4:5], 0x18
	v_lshl_add_u32 v81, v85, 4, v87
	s_waitcnt lgkmcnt(0)
	s_load_dwordx4 s[8:11], s[0:1], 0x0
	s_waitcnt lgkmcnt(0)
	v_mad_u64_u32 v[0:1], s[0:1], s10, v68, 0
	v_mad_u64_u32 v[2:3], s[0:1], s8, v85, 0
	v_mad_u64_u32 v[4:5], s[0:1], s11, v68, v[1:2]
	v_mad_u64_u32 v[5:6], s[0:1], s9, v85, v[3:4]
	v_mov_b32_e32 v1, v4
	v_lshlrev_b64 v[0:1], 4, v[0:1]
	v_mov_b32_e32 v3, v5
	v_mov_b32_e32 v6, s3
	v_lshlrev_b64 v[2:3], 4, v[2:3]
	v_add_co_u32_e64 v0, s[0:1], s2, v0
	v_addc_co_u32_e64 v1, s[0:1], v6, v1, s[0:1]
	v_add_co_u32_e64 v16, s[0:1], v0, v2
	v_addc_co_u32_e64 v17, s[0:1], v1, v3, s[0:1]
	s_mul_i32 s0, s9, 0x1e0
	s_mul_hi_u32 s3, s8, 0x1e0
	s_add_i32 s3, s3, s0
	s_mul_i32 s2, s8, 0x1e0
	v_mov_b32_e32 v0, s3
	v_add_co_u32_e64 v18, s[0:1], s2, v16
	v_addc_co_u32_e64 v19, s[0:1], v17, v0, s[0:1]
	global_load_dwordx4 v[0:3], v[16:17], off
	global_load_dwordx4 v[4:7], v[18:19], off
	global_load_dwordx4 v[8:11], v86, s[14:15]
	global_load_dwordx4 v[12:15], v86, s[14:15] offset:480
	v_mov_b32_e32 v16, s3
	v_add_co_u32_e64 v48, s[0:1], s2, v18
	v_addc_co_u32_e64 v49, s[0:1], v19, v16, s[0:1]
	v_mov_b32_e32 v24, s3
	v_add_co_u32_e64 v50, s[0:1], s2, v48
	v_addc_co_u32_e64 v51, s[0:1], v49, v24, s[0:1]
	global_load_dwordx4 v[16:19], v86, s[14:15] offset:960
	global_load_dwordx4 v[20:23], v86, s[14:15] offset:1440
	global_load_dwordx4 v[24:27], v[48:49], off
	global_load_dwordx4 v[28:31], v[50:51], off
	global_load_dwordx4 v[32:35], v86, s[14:15] offset:1920
	global_load_dwordx4 v[36:39], v86, s[14:15] offset:2400
	;; [unrolled: 1-line block ×4, first 2 shown]
	v_mov_b32_e32 v48, s3
	v_add_co_u32_e64 v52, s[0:1], s2, v50
	v_addc_co_u32_e64 v53, s[0:1], v51, v48, s[0:1]
	v_mov_b32_e32 v54, s3
	v_add_co_u32_e64 v56, s[0:1], s2, v52
	v_addc_co_u32_e64 v57, s[0:1], v53, v54, s[0:1]
	v_mov_b32_e32 v58, s3
	v_add_co_u32_e64 v60, s[0:1], s2, v56
	global_load_dwordx4 v[48:51], v[52:53], off
	v_addc_co_u32_e64 v61, s[0:1], v57, v58, s[0:1]
	v_mov_b32_e32 v62, s3
	global_load_dwordx4 v[52:55], v[56:57], off
	s_waitcnt vmcnt(11)
	v_mul_f64 v[64:65], v[2:3], v[10:11]
	global_load_dwordx4 v[56:59], v[60:61], off
	v_add_co_u32_e64 v60, s[0:1], s2, v60
	v_addc_co_u32_e64 v61, s[0:1], v61, v62, s[0:1]
	global_load_dwordx4 v[60:63], v[60:61], off
	v_mul_f64 v[10:11], v[0:1], v[10:11]
	s_waitcnt vmcnt(12)
	v_mul_f64 v[66:67], v[6:7], v[14:15]
	v_mul_f64 v[14:15], v[4:5], v[14:15]
	v_fma_f64 v[0:1], v[0:1], v[8:9], v[64:65]
	s_waitcnt vmcnt(9)
	v_mul_f64 v[69:70], v[26:27], v[18:19]
	v_mul_f64 v[18:19], v[24:25], v[18:19]
	s_waitcnt vmcnt(8)
	v_mul_f64 v[71:72], v[30:31], v[22:23]
	v_mul_f64 v[22:23], v[28:29], v[22:23]
	v_fma_f64 v[2:3], v[2:3], v[8:9], -v[10:11]
	v_fma_f64 v[4:5], v[4:5], v[12:13], v[66:67]
	v_fma_f64 v[6:7], v[6:7], v[12:13], -v[14:15]
	v_fma_f64 v[8:9], v[24:25], v[16:17], v[69:70]
	;; [unrolled: 2-line block ×3, first 2 shown]
	v_fma_f64 v[14:15], v[30:31], v[20:21], -v[22:23]
	ds_write_b128 v81, v[0:3]
	v_add_u32_e32 v0, v87, v86
	s_waitcnt vmcnt(3)
	v_mul_f64 v[73:74], v[50:51], v[34:35]
	v_mul_f64 v[34:35], v[48:49], v[34:35]
	s_waitcnt vmcnt(2)
	v_mul_f64 v[75:76], v[54:55], v[38:39]
	v_mul_f64 v[38:39], v[52:53], v[38:39]
	v_fma_f64 v[16:17], v[48:49], v[32:33], v[73:74]
	v_fma_f64 v[18:19], v[50:51], v[32:33], -v[34:35]
	v_fma_f64 v[20:21], v[52:53], v[36:37], v[75:76]
	v_fma_f64 v[22:23], v[54:55], v[36:37], -v[38:39]
	s_waitcnt vmcnt(1)
	v_mul_f64 v[77:78], v[58:59], v[42:43]
	v_mul_f64 v[42:43], v[56:57], v[42:43]
	s_waitcnt vmcnt(0)
	v_mul_f64 v[79:80], v[62:63], v[46:47]
	v_mul_f64 v[46:47], v[60:61], v[46:47]
	v_fma_f64 v[24:25], v[56:57], v[40:41], v[77:78]
	v_fma_f64 v[26:27], v[58:59], v[40:41], -v[42:43]
	v_fma_f64 v[28:29], v[60:61], v[44:45], v[79:80]
	v_fma_f64 v[30:31], v[62:63], v[44:45], -v[46:47]
	ds_write_b128 v0, v[4:7] offset:480
	ds_write_b128 v0, v[8:11] offset:960
	ds_write_b128 v0, v[12:15] offset:1440
	ds_write_b128 v0, v[16:19] offset:1920
	ds_write_b128 v0, v[20:23] offset:2400
	ds_write_b128 v0, v[24:27] offset:2880
	ds_write_b128 v0, v[28:31] offset:3360
.LBB0_3:
	s_or_b64 exec, exec, s[6:7]
	s_load_dwordx2 s[0:1], s[4:5], 0x20
	s_load_dwordx2 s[2:3], s[4:5], 0x8
	s_waitcnt lgkmcnt(0)
	s_barrier
	s_waitcnt lgkmcnt(0)
                                        ; implicit-def: $vgpr0_vgpr1
                                        ; implicit-def: $vgpr8_vgpr9
                                        ; implicit-def: $vgpr16_vgpr17
                                        ; implicit-def: $vgpr28_vgpr29
                                        ; implicit-def: $vgpr24_vgpr25
                                        ; implicit-def: $vgpr20_vgpr21
                                        ; implicit-def: $vgpr12_vgpr13
                                        ; implicit-def: $vgpr4_vgpr5
	s_and_saveexec_b64 s[4:5], vcc
	s_cbranch_execz .LBB0_5
; %bb.4:
	v_lshl_add_u32 v28, v88, 4, v86
	ds_read_b128 v[0:3], v28
	ds_read_b128 v[4:7], v28 offset:480
	ds_read_b128 v[8:11], v28 offset:960
	;; [unrolled: 1-line block ×7, first 2 shown]
.LBB0_5:
	s_or_b64 exec, exec, s[4:5]
	s_waitcnt lgkmcnt(3)
	v_add_f64 v[32:33], v[0:1], -v[20:21]
	v_add_f64 v[22:23], v[2:3], -v[22:23]
	s_waitcnt lgkmcnt(1)
	v_add_f64 v[20:21], v[8:9], -v[24:25]
	v_add_f64 v[24:25], v[10:11], -v[26:27]
	v_add_f64 v[26:27], v[4:5], -v[16:17]
	v_add_f64 v[34:35], v[6:7], -v[18:19]
	s_waitcnt lgkmcnt(0)
	v_add_f64 v[30:31], v[14:15], -v[30:31]
	v_add_f64 v[28:29], v[12:13], -v[28:29]
	v_fma_f64 v[16:17], v[0:1], 2.0, -v[32:33]
	v_fma_f64 v[18:19], v[2:3], 2.0, -v[22:23]
	v_add_f64 v[2:3], v[20:21], v[22:23]
	v_fma_f64 v[38:39], v[10:11], 2.0, -v[24:25]
	v_add_f64 v[0:1], v[32:33], -v[24:25]
	v_fma_f64 v[36:37], v[8:9], 2.0, -v[20:21]
	v_add_f64 v[24:25], v[26:27], -v[30:31]
	v_add_f64 v[40:41], v[28:29], v[34:35]
	v_fma_f64 v[8:9], v[4:5], 2.0, -v[26:27]
	v_fma_f64 v[20:21], v[6:7], 2.0, -v[34:35]
	;; [unrolled: 1-line block ×8, first 2 shown]
	s_mov_b32 s4, 0x667f3bcd
	s_mov_b32 s5, 0xbfe6a09e
	;; [unrolled: 1-line block ×4, first 2 shown]
	v_add_f64 v[10:11], v[16:17], -v[36:37]
	v_add_f64 v[12:13], v[18:19], -v[38:39]
	v_add_f64 v[14:15], v[8:9], -v[28:29]
	v_add_f64 v[22:23], v[20:21], -v[30:31]
	v_fma_f64 v[28:29], v[26:27], s[4:5], v[4:5]
	v_fma_f64 v[30:31], v[32:33], s[4:5], v[6:7]
	;; [unrolled: 1-line block ×4, first 2 shown]
	v_lshlrev_b16_e32 v90, 3, v85
	s_barrier
	v_fma_f64 v[44:45], v[32:33], s[4:5], v[28:29]
	v_fma_f64 v[46:47], v[26:27], s[6:7], v[30:31]
	v_add_f64 v[28:29], v[10:11], -v[22:23]
	v_add_f64 v[30:31], v[12:13], v[14:15]
	v_fma_f64 v[36:37], v[40:41], s[4:5], v[34:35]
	v_fma_f64 v[38:39], v[24:25], s[6:7], v[38:39]
	s_and_saveexec_b64 s[4:5], vcc
	s_cbranch_execz .LBB0_7
; %bb.6:
	v_fma_f64 v[24:25], v[18:19], 2.0, -v[12:13]
	v_fma_f64 v[18:19], v[20:21], 2.0, -v[22:23]
	v_fma_f64 v[22:23], v[16:17], 2.0, -v[10:11]
	v_fma_f64 v[8:9], v[8:9], 2.0, -v[14:15]
	v_fma_f64 v[20:21], v[6:7], 2.0, -v[46:47]
	v_fma_f64 v[6:7], v[10:11], 2.0, -v[28:29]
	v_fma_f64 v[2:3], v[2:3], 2.0, -v[38:39]
	v_fma_f64 v[0:1], v[0:1], 2.0, -v[36:37]
	v_add_f64 v[16:17], v[24:25], -v[18:19]
	v_fma_f64 v[18:19], v[4:5], 2.0, -v[44:45]
	v_add_f64 v[14:15], v[22:23], -v[8:9]
	v_fma_f64 v[8:9], v[12:13], 2.0, -v[30:31]
	v_add_lshl_u32 v4, v88, v90, 4
	v_fma_f64 v[12:13], v[24:25], 2.0, -v[16:17]
	v_fma_f64 v[10:11], v[22:23], 2.0, -v[14:15]
	ds_write_b128 v4, v[44:47] offset:80
	ds_write_b128 v4, v[28:31] offset:96
	;; [unrolled: 1-line block ×6, first 2 shown]
	ds_write_b128 v4, v[10:13]
	ds_write_b128 v4, v[36:39] offset:112
.LBB0_7:
	s_or_b64 exec, exec, s[4:5]
	v_and_b32_e32 v81, 7, v85
	v_lshlrev_b32_e32 v16, 6, v81
	s_load_dwordx4 s[4:7], s[0:1], 0x0
	s_waitcnt lgkmcnt(0)
	s_barrier
	global_load_dwordx4 v[12:15], v16, s[2:3]
	global_load_dwordx4 v[8:11], v16, s[2:3] offset:16
	global_load_dwordx4 v[4:7], v16, s[2:3] offset:32
	;; [unrolled: 1-line block ×3, first 2 shown]
	v_add_lshl_u32 v89, v88, v85, 4
	ds_read_b128 v[16:19], v89
	ds_read_b128 v[20:23], v89 offset:768
	ds_read_b128 v[24:27], v89 offset:1536
	;; [unrolled: 1-line block ×4, first 2 shown]
	v_lshrrev_b32_e32 v48, 3, v85
	v_mul_u32_u24_e32 v82, 40, v48
	s_mov_b32 s8, 0x134454ff
	s_mov_b32 s9, 0x3fee6f0e
	;; [unrolled: 1-line block ×10, first 2 shown]
	s_waitcnt vmcnt(0) lgkmcnt(0)
	s_barrier
	v_mul_f64 v[48:49], v[22:23], v[14:15]
	v_mul_f64 v[50:51], v[20:21], v[14:15]
	;; [unrolled: 1-line block ×8, first 2 shown]
	v_fma_f64 v[20:21], v[20:21], v[12:13], -v[48:49]
	v_fma_f64 v[22:23], v[22:23], v[12:13], v[50:51]
	v_fma_f64 v[24:25], v[24:25], v[8:9], -v[52:53]
	v_fma_f64 v[32:33], v[32:33], v[4:5], -v[54:55]
	v_fma_f64 v[26:27], v[26:27], v[8:9], v[56:57]
	v_fma_f64 v[40:41], v[40:41], v[0:1], -v[58:59]
	v_fma_f64 v[34:35], v[34:35], v[4:5], v[60:61]
	v_fma_f64 v[42:43], v[42:43], v[0:1], v[62:63]
	v_add_f64 v[48:49], v[16:17], v[20:21]
	v_add_f64 v[66:67], v[18:19], v[22:23]
	v_add_f64 v[52:53], v[20:21], -v[24:25]
	v_add_f64 v[50:51], v[24:25], v[32:33]
	v_add_f64 v[62:63], v[24:25], -v[20:21]
	v_add_f64 v[54:55], v[20:21], v[40:41]
	v_add_f64 v[56:57], v[26:27], v[34:35]
	;; [unrolled: 1-line block ×3, first 2 shown]
	v_add_f64 v[60:61], v[40:41], -v[32:33]
	v_add_f64 v[69:70], v[22:23], -v[26:27]
	;; [unrolled: 1-line block ×7, first 2 shown]
	v_fma_f64 v[50:51], v[50:51], -0.5, v[16:17]
	v_fma_f64 v[16:17], v[54:55], -0.5, v[16:17]
	;; [unrolled: 1-line block ×4, first 2 shown]
	v_add_f64 v[24:25], v[48:49], v[24:25]
	v_add_f64 v[26:27], v[66:67], v[26:27]
	v_add_f64 v[64:65], v[32:33], -v[40:41]
	v_add_f64 v[71:72], v[42:43], -v[34:35]
	;; [unrolled: 1-line block ×3, first 2 shown]
	v_add_f64 v[56:57], v[52:53], v[60:61]
	v_fma_f64 v[48:49], v[22:23], s[8:9], v[50:51]
	v_fma_f64 v[50:51], v[22:23], s[18:19], v[50:51]
	v_add_f64 v[24:25], v[24:25], v[32:33]
	v_fma_f64 v[32:33], v[77:78], s[18:19], v[16:17]
	v_fma_f64 v[16:17], v[77:78], s[8:9], v[16:17]
	;; [unrolled: 3-line block ×3, first 2 shown]
	v_fma_f64 v[18:19], v[79:80], s[18:19], v[18:19]
	v_fma_f64 v[54:55], v[20:21], s[8:9], v[54:55]
	v_add_f64 v[58:59], v[62:63], v[64:65]
	v_add_f64 v[66:67], v[69:70], v[71:72]
	;; [unrolled: 1-line block ×3, first 2 shown]
	v_fma_f64 v[60:61], v[77:78], s[0:1], v[48:49]
	v_fma_f64 v[64:65], v[77:78], s[16:17], v[50:51]
	v_add_f64 v[48:49], v[24:25], v[40:41]
	v_fma_f64 v[24:25], v[22:23], s[0:1], v[32:33]
	v_fma_f64 v[16:17], v[22:23], s[16:17], v[16:17]
	v_add_f64 v[50:51], v[26:27], v[42:43]
	v_fma_f64 v[22:23], v[79:80], s[16:17], v[34:35]
	v_fma_f64 v[26:27], v[20:21], s[16:17], v[52:53]
	v_fma_f64 v[18:19], v[20:21], s[0:1], v[18:19]
	v_fma_f64 v[20:21], v[79:80], s[0:1], v[54:55]
	v_fma_f64 v[52:53], v[56:57], s[10:11], v[60:61]
	v_fma_f64 v[64:65], v[56:57], s[10:11], v[64:65]
	v_fma_f64 v[56:57], v[58:59], s[10:11], v[24:25]
	v_fma_f64 v[60:61], v[58:59], s[10:11], v[16:17]
	v_fma_f64 v[54:55], v[66:67], s[10:11], v[22:23]
	v_fma_f64 v[58:59], v[62:63], s[10:11], v[26:27]
	v_fma_f64 v[62:63], v[62:63], s[10:11], v[18:19]
	v_fma_f64 v[66:67], v[66:67], s[10:11], v[20:21]
	v_or_b32_e32 v16, v82, v81
	v_add_lshl_u32 v91, v88, v16, 4
	v_cmp_gt_u16_e64 s[0:1], 40, v85
	ds_write_b128 v91, v[48:51]
	ds_write_b128 v91, v[52:55] offset:128
	ds_write_b128 v91, v[56:59] offset:256
	;; [unrolled: 1-line block ×4, first 2 shown]
	s_waitcnt lgkmcnt(0)
	s_barrier
	s_and_saveexec_b64 s[8:9], s[0:1]
	s_cbranch_execz .LBB0_9
; %bb.8:
	ds_read_b128 v[48:51], v89
	ds_read_b128 v[52:55], v89 offset:640
	ds_read_b128 v[56:59], v89 offset:1280
	;; [unrolled: 1-line block ×5, first 2 shown]
.LBB0_9:
	s_or_b64 exec, exec, s[8:9]
	v_subrev_u32_e32 v16, 40, v85
	v_cndmask_b32_e64 v16, v16, v85, s[0:1]
	v_mul_hi_i32_i24_e32 v17, 0x50, v16
	v_mul_i32_i24_e32 v16, 0x50, v16
	v_mov_b32_e32 v18, s3
	v_add_co_u32_e64 v69, s[2:3], s2, v16
	v_addc_co_u32_e64 v70, s[2:3], v18, v17, s[2:3]
	global_load_dwordx4 v[16:19], v[69:70], off offset:512
	global_load_dwordx4 v[20:23], v[69:70], off offset:528
	;; [unrolled: 1-line block ×5, first 2 shown]
	s_mov_b32 s2, 0xe8584caa
	s_mov_b32 s3, 0x3febb67a
	s_mov_b32 s9, 0xbfebb67a
	s_mov_b32 s8, s2
	s_waitcnt vmcnt(4) lgkmcnt(4)
	v_mul_f64 v[69:70], v[54:55], v[18:19]
	v_mul_f64 v[71:72], v[52:53], v[18:19]
	s_waitcnt vmcnt(2) lgkmcnt(2)
	v_mul_f64 v[75:76], v[62:63], v[26:27]
	v_mul_f64 v[77:78], v[60:61], v[26:27]
	;; [unrolled: 3-line block ×3, first 2 shown]
	v_mul_f64 v[73:74], v[58:59], v[22:23]
	v_mul_f64 v[83:84], v[56:57], v[22:23]
	s_waitcnt vmcnt(0)
	v_mul_f64 v[92:93], v[66:67], v[34:35]
	v_mul_f64 v[94:95], v[64:65], v[34:35]
	v_fma_f64 v[60:61], v[60:61], v[24:25], -v[75:76]
	v_fma_f64 v[62:63], v[62:63], v[24:25], v[77:78]
	v_fma_f64 v[46:47], v[46:47], v[40:41], v[79:80]
	v_fma_f64 v[44:45], v[44:45], v[40:41], -v[81:82]
	v_fma_f64 v[56:57], v[56:57], v[20:21], -v[73:74]
	;; [unrolled: 1-line block ×3, first 2 shown]
	v_fma_f64 v[54:55], v[54:55], v[16:17], v[71:72]
	v_fma_f64 v[58:59], v[58:59], v[20:21], v[83:84]
	v_fma_f64 v[64:65], v[64:65], v[32:33], -v[92:93]
	v_fma_f64 v[66:67], v[66:67], v[32:33], v[94:95]
	v_add_f64 v[69:70], v[62:63], v[46:47]
	v_add_f64 v[71:72], v[60:61], v[44:45]
	v_add_f64 v[73:74], v[48:49], v[56:57]
	v_add_f64 v[81:82], v[62:63], -v[46:47]
	v_add_f64 v[83:84], v[60:61], -v[44:45]
	v_add_f64 v[79:80], v[50:51], v[58:59]
	v_add_f64 v[75:76], v[56:57], v[64:65]
	v_add_f64 v[77:78], v[58:59], -v[66:67]
	v_fma_f64 v[69:70], v[69:70], -0.5, v[54:55]
	v_fma_f64 v[71:72], v[71:72], -0.5, v[52:53]
	v_add_f64 v[58:59], v[58:59], v[66:67]
	v_add_f64 v[56:57], v[56:57], -v[64:65]
	v_add_f64 v[52:53], v[52:53], v[60:61]
	v_add_f64 v[54:55], v[54:55], v[62:63]
	;; [unrolled: 1-line block ×3, first 2 shown]
	v_fma_f64 v[48:49], v[75:76], -0.5, v[48:49]
	v_fma_f64 v[62:63], v[83:84], s[8:9], v[69:70]
	v_fma_f64 v[64:65], v[81:82], s[8:9], v[71:72]
	;; [unrolled: 1-line block ×4, first 2 shown]
	v_fma_f64 v[50:51], v[58:59], -0.5, v[50:51]
	v_add_f64 v[52:53], v[52:53], v[44:45]
	v_add_f64 v[54:55], v[54:55], v[46:47]
	;; [unrolled: 1-line block ×3, first 2 shown]
	v_mul_f64 v[44:45], v[62:63], s[2:3]
	v_mul_f64 v[46:47], v[64:65], -0.5
	v_mul_f64 v[58:59], v[71:72], s[8:9]
	v_mul_f64 v[73:74], v[69:70], -0.5
	v_fma_f64 v[75:76], v[77:78], s[2:3], v[48:49]
	v_fma_f64 v[77:78], v[77:78], s[8:9], v[48:49]
	;; [unrolled: 1-line block ×4, first 2 shown]
	v_fma_f64 v[71:72], v[71:72], 0.5, v[44:45]
	v_fma_f64 v[69:70], v[69:70], s[2:3], v[46:47]
	v_fma_f64 v[62:63], v[62:63], 0.5, v[58:59]
	v_fma_f64 v[73:74], v[64:65], s[8:9], v[73:74]
	v_add_f64 v[44:45], v[60:61], v[52:53]
	v_add_f64 v[46:47], v[66:67], v[54:55]
	v_add_f64 v[56:57], v[60:61], -v[52:53]
	v_add_f64 v[58:59], v[66:67], -v[54:55]
	v_add_f64 v[48:49], v[75:76], v[71:72]
	v_add_f64 v[52:53], v[77:78], v[69:70]
	;; [unrolled: 1-line block ×4, first 2 shown]
	v_add_f64 v[60:61], v[75:76], -v[71:72]
	v_add_f64 v[64:65], v[77:78], -v[69:70]
	;; [unrolled: 1-line block ×4, first 2 shown]
	s_and_saveexec_b64 s[2:3], s[0:1]
	s_cbranch_execz .LBB0_11
; %bb.10:
	v_lshl_add_u32 v69, v88, 4, v86
	ds_write_b128 v69, v[44:47]
	ds_write_b128 v69, v[48:51] offset:640
	ds_write_b128 v69, v[52:55] offset:1280
	;; [unrolled: 1-line block ×5, first 2 shown]
.LBB0_11:
	s_or_b64 exec, exec, s[2:3]
	s_waitcnt lgkmcnt(0)
	s_barrier
	s_and_saveexec_b64 s[2:3], vcc
	s_cbranch_execz .LBB0_13
; %bb.12:
	global_load_dwordx4 v[73:76], v86, s[14:15] offset:3840
	v_lshl_add_u32 v81, v85, 4, v87
	ds_read_b128 v[69:72], v81
	s_add_u32 s8, s14, 0xf00
	s_addc_u32 s9, s15, 0
	s_waitcnt vmcnt(0) lgkmcnt(0)
	v_mul_f64 v[77:78], v[71:72], v[75:76]
	v_fma_f64 v[77:78], v[69:70], v[73:74], -v[77:78]
	v_mul_f64 v[69:70], v[69:70], v[75:76]
	v_fma_f64 v[79:80], v[71:72], v[73:74], v[69:70]
	global_load_dwordx4 v[73:76], v86, s[8:9] offset:480
	ds_write_b128 v81, v[77:80]
	v_add_u32_e32 v81, v87, v86
	ds_read_b128 v[69:72], v81 offset:480
	s_waitcnt vmcnt(0) lgkmcnt(0)
	v_mul_f64 v[77:78], v[71:72], v[75:76]
	v_fma_f64 v[77:78], v[69:70], v[73:74], -v[77:78]
	v_mul_f64 v[69:70], v[69:70], v[75:76]
	v_fma_f64 v[79:80], v[71:72], v[73:74], v[69:70]
	global_load_dwordx4 v[73:76], v86, s[8:9] offset:960
	ds_read_b128 v[69:72], v81 offset:960
	ds_write_b128 v81, v[77:80] offset:480
	s_waitcnt vmcnt(0) lgkmcnt(1)
	v_mul_f64 v[77:78], v[71:72], v[75:76]
	v_fma_f64 v[77:78], v[69:70], v[73:74], -v[77:78]
	v_mul_f64 v[69:70], v[69:70], v[75:76]
	v_fma_f64 v[79:80], v[71:72], v[73:74], v[69:70]
	global_load_dwordx4 v[73:76], v86, s[8:9] offset:1440
	ds_read_b128 v[69:72], v81 offset:1440
	ds_write_b128 v81, v[77:80] offset:960
	;; [unrolled: 8-line block ×6, first 2 shown]
	s_waitcnt vmcnt(0) lgkmcnt(1)
	v_mul_f64 v[77:78], v[71:72], v[75:76]
	v_fma_f64 v[77:78], v[69:70], v[73:74], -v[77:78]
	v_mul_f64 v[69:70], v[69:70], v[75:76]
	v_fma_f64 v[79:80], v[71:72], v[73:74], v[69:70]
	ds_write_b128 v81, v[77:80] offset:3360
.LBB0_13:
	s_or_b64 exec, exec, s[2:3]
	s_waitcnt lgkmcnt(0)
	s_barrier
	s_and_saveexec_b64 s[2:3], vcc
	s_cbranch_execz .LBB0_15
; %bb.14:
	v_lshl_add_u32 v36, v88, 4, v86
	ds_read_b128 v[44:47], v36
	ds_read_b128 v[48:51], v36 offset:480
	ds_read_b128 v[52:55], v36 offset:960
	;; [unrolled: 1-line block ×7, first 2 shown]
.LBB0_15:
	s_or_b64 exec, exec, s[2:3]
	s_waitcnt lgkmcnt(3)
	v_add_f64 v[71:72], v[44:45], -v[60:61]
	v_add_f64 v[79:80], v[46:47], -v[62:63]
	s_waitcnt lgkmcnt(1)
	v_add_f64 v[69:70], v[52:53], -v[28:29]
	v_add_f64 v[83:84], v[54:55], -v[30:31]
	;; [unrolled: 1-line block ×4, first 2 shown]
	s_waitcnt lgkmcnt(0)
	v_add_f64 v[77:78], v[58:59], -v[38:39]
	v_add_f64 v[75:76], v[56:57], -v[36:37]
	s_mov_b32 s8, 0x667f3bcd
	s_mov_b32 s9, 0xbfe6a09e
	v_add_f64 v[38:39], v[79:80], -v[69:70]
	v_add_f64 v[36:37], v[83:84], v[71:72]
	s_mov_b32 s11, 0x3fe6a09e
	s_mov_b32 s10, s8
	v_add_f64 v[64:65], v[77:78], v[81:82]
	v_add_f64 v[66:67], v[73:74], -v[75:76]
	s_barrier
	v_fma_f64 v[62:63], v[79:80], 2.0, -v[38:39]
	v_fma_f64 v[60:61], v[71:72], 2.0, -v[36:37]
	;; [unrolled: 1-line block ×4, first 2 shown]
	v_fma_f64 v[92:93], v[30:31], s[8:9], v[60:61]
	v_fma_f64 v[94:95], v[28:29], s[8:9], v[62:63]
	;; [unrolled: 1-line block ×4, first 2 shown]
	s_and_saveexec_b64 s[2:3], vcc
	s_cbranch_execz .LBB0_17
; %bb.16:
	v_fma_f64 v[46:47], v[46:47], 2.0, -v[79:80]
	v_fma_f64 v[54:55], v[54:55], 2.0, -v[83:84]
	;; [unrolled: 1-line block ×8, first 2 shown]
	v_add_f64 v[69:70], v[46:47], -v[54:55]
	v_add_f64 v[54:55], v[50:51], -v[58:59]
	;; [unrolled: 1-line block ×4, first 2 shown]
	v_fma_f64 v[56:57], v[66:67], s[10:11], v[38:39]
	v_fma_f64 v[58:59], v[64:65], s[10:11], v[36:37]
	v_fma_f64 v[73:74], v[46:47], 2.0, -v[69:70]
	v_fma_f64 v[75:76], v[50:51], 2.0, -v[54:55]
	;; [unrolled: 1-line block ×4, first 2 shown]
	v_fma_f64 v[46:47], v[64:65], s[8:9], v[56:57]
	v_fma_f64 v[44:45], v[66:67], s[10:11], v[58:59]
	v_add_f64 v[50:51], v[69:70], -v[52:53]
	v_add_f64 v[48:49], v[71:72], v[54:55]
	v_fma_f64 v[58:59], v[62:63], 2.0, -v[30:31]
	v_add_f64 v[54:55], v[73:74], -v[75:76]
	v_fma_f64 v[56:57], v[60:61], 2.0, -v[28:29]
	v_add_f64 v[52:53], v[77:78], -v[79:80]
	v_fma_f64 v[38:39], v[38:39], 2.0, -v[46:47]
	v_fma_f64 v[36:37], v[36:37], 2.0, -v[44:45]
	;; [unrolled: 1-line block ×4, first 2 shown]
	v_add_lshl_u32 v69, v88, v90, 4
	v_fma_f64 v[66:67], v[73:74], 2.0, -v[54:55]
	v_fma_f64 v[64:65], v[77:78], 2.0, -v[52:53]
	ds_write_b128 v69, v[28:31] offset:80
	ds_write_b128 v69, v[56:59] offset:16
	;; [unrolled: 1-line block ×6, first 2 shown]
	ds_write_b128 v69, v[64:67]
	ds_write_b128 v69, v[44:47] offset:112
.LBB0_17:
	s_or_b64 exec, exec, s[2:3]
	s_waitcnt lgkmcnt(0)
	s_barrier
	ds_read_b128 v[36:39], v89 offset:1536
	ds_read_b128 v[44:47], v89 offset:2304
	;; [unrolled: 1-line block ×4, first 2 shown]
	s_mov_b32 s2, 0x134454ff
	s_waitcnt lgkmcnt(3)
	v_mul_f64 v[56:57], v[10:11], v[38:39]
	s_waitcnt lgkmcnt(2)
	v_mul_f64 v[58:59], v[6:7], v[46:47]
	;; [unrolled: 2-line block ×3, first 2 shown]
	v_mul_f64 v[14:15], v[14:15], v[48:49]
	v_mul_f64 v[10:11], v[10:11], v[36:37]
	;; [unrolled: 1-line block ×3, first 2 shown]
	s_mov_b32 s3, 0xbfee6f0e
	s_mov_b32 s8, 0x4755a5e
	v_fma_f64 v[64:65], v[8:9], v[36:37], v[56:57]
	v_fma_f64 v[66:67], v[4:5], v[44:45], v[58:59]
	ds_read_b128 v[56:59], v89
	s_waitcnt lgkmcnt(1)
	v_mul_f64 v[62:63], v[2:3], v[52:53]
	v_mul_f64 v[2:3], v[2:3], v[54:55]
	v_fma_f64 v[36:37], v[12:13], v[48:49], v[60:61]
	v_fma_f64 v[12:13], v[12:13], v[50:51], -v[14:15]
	v_fma_f64 v[8:9], v[8:9], v[38:39], -v[10:11]
	;; [unrolled: 1-line block ×3, first 2 shown]
	v_add_f64 v[44:45], v[64:65], v[66:67]
	s_mov_b32 s9, 0xbfe2cf23
	v_fma_f64 v[14:15], v[0:1], v[54:55], -v[62:63]
	v_fma_f64 v[2:3], v[0:1], v[52:53], v[2:3]
	s_waitcnt lgkmcnt(0)
	v_add_f64 v[0:1], v[56:57], v[36:37]
	s_mov_b32 s17, 0x3fee6f0e
	s_mov_b32 s16, s2
	v_add_f64 v[38:39], v[8:9], -v[6:7]
	v_fma_f64 v[4:5], v[44:45], -0.5, v[56:57]
	v_add_f64 v[44:45], v[36:37], -v[64:65]
	v_add_f64 v[10:11], v[12:13], -v[14:15]
	;; [unrolled: 1-line block ×3, first 2 shown]
	v_add_f64 v[48:49], v[36:37], v[2:3]
	v_add_f64 v[0:1], v[0:1], v[64:65]
	;; [unrolled: 1-line block ×3, first 2 shown]
	s_mov_b32 s10, 0x372fe950
	s_mov_b32 s11, 0x3fd3c6ef
	;; [unrolled: 1-line block ×3, first 2 shown]
	v_fma_f64 v[50:51], v[10:11], s[2:3], v[4:5]
	v_add_f64 v[44:45], v[44:45], v[46:47]
	v_fma_f64 v[46:47], v[48:49], -0.5, v[56:57]
	v_add_f64 v[0:1], v[0:1], v[66:67]
	v_fma_f64 v[54:55], v[10:11], s[16:17], v[4:5]
	s_mov_b32 s18, s8
	v_add_f64 v[60:61], v[66:67], -v[2:3]
	v_add_f64 v[62:63], v[58:59], v[12:13]
	v_fma_f64 v[48:49], v[38:39], s[8:9], v[50:51]
	v_add_f64 v[50:51], v[8:9], v[6:7]
	v_fma_f64 v[52:53], v[52:53], -0.5, v[58:59]
	v_add_f64 v[0:1], v[0:1], v[2:3]
	v_add_f64 v[2:3], v[36:37], -v[2:3]
	v_fma_f64 v[56:57], v[38:39], s[16:17], v[46:47]
	s_barrier
	v_fma_f64 v[4:5], v[44:45], s[10:11], v[48:49]
	v_add_f64 v[48:49], v[64:65], -v[36:37]
	v_fma_f64 v[50:51], v[50:51], -0.5, v[58:59]
	v_fma_f64 v[36:37], v[38:39], s[18:19], v[54:55]
	v_add_f64 v[54:55], v[64:65], -v[66:67]
	v_fma_f64 v[38:39], v[38:39], s[2:3], v[46:47]
	v_add_f64 v[46:47], v[62:63], v[8:9]
	v_add_f64 v[62:63], v[14:15], -v[6:7]
	v_fma_f64 v[56:57], v[10:11], s[8:9], v[56:57]
	v_add_f64 v[48:49], v[48:49], v[60:61]
	v_fma_f64 v[58:59], v[2:3], s[16:17], v[50:51]
	v_add_f64 v[60:61], v[12:13], -v[8:9]
	v_fma_f64 v[64:65], v[54:55], s[2:3], v[52:53]
	v_add_f64 v[8:9], v[8:9], -v[12:13]
	v_add_f64 v[12:13], v[6:7], -v[14:15]
	v_fma_f64 v[52:53], v[54:55], s[16:17], v[52:53]
	v_fma_f64 v[50:51], v[2:3], s[2:3], v[50:51]
	;; [unrolled: 1-line block ×3, first 2 shown]
	v_add_f64 v[6:7], v[46:47], v[6:7]
	v_fma_f64 v[38:39], v[54:55], s[18:19], v[58:59]
	v_add_f64 v[46:47], v[60:61], v[62:63]
	v_fma_f64 v[58:59], v[2:3], s[18:19], v[64:65]
	;; [unrolled: 2-line block ×3, first 2 shown]
	v_fma_f64 v[50:51], v[54:55], s[8:9], v[50:51]
	v_fma_f64 v[36:37], v[44:45], s[10:11], v[36:37]
	;; [unrolled: 1-line block ×4, first 2 shown]
	v_add_f64 v[2:3], v[6:7], v[14:15]
	v_fma_f64 v[6:7], v[46:47], s[10:11], v[38:39]
	v_fma_f64 v[10:11], v[60:61], s[10:11], v[58:59]
	;; [unrolled: 1-line block ×4, first 2 shown]
	ds_write_b128 v91, v[0:3]
	ds_write_b128 v91, v[4:7] offset:128
	ds_write_b128 v91, v[8:11] offset:256
	;; [unrolled: 1-line block ×4, first 2 shown]
	s_waitcnt lgkmcnt(0)
	s_barrier
	s_and_saveexec_b64 s[2:3], s[0:1]
	s_cbranch_execz .LBB0_19
; %bb.18:
	ds_read_b128 v[0:3], v89
	ds_read_b128 v[4:7], v89 offset:640
	ds_read_b128 v[8:11], v89 offset:1280
	;; [unrolled: 1-line block ×5, first 2 shown]
.LBB0_19:
	s_or_b64 exec, exec, s[2:3]
	s_and_saveexec_b64 s[2:3], s[0:1]
	s_cbranch_execz .LBB0_21
; %bb.20:
	s_waitcnt lgkmcnt(2)
	v_mul_f64 v[44:45], v[26:27], v[12:13]
	s_waitcnt lgkmcnt(0)
	v_mul_f64 v[46:47], v[42:43], v[28:29]
	v_mul_f64 v[26:27], v[26:27], v[14:15]
	;; [unrolled: 1-line block ×7, first 2 shown]
	v_fma_f64 v[14:15], v[24:25], v[14:15], -v[44:45]
	v_fma_f64 v[30:31], v[40:41], v[30:31], -v[46:47]
	v_mul_f64 v[44:45], v[34:35], v[36:37]
	v_mul_f64 v[34:35], v[34:35], v[38:39]
	v_fma_f64 v[12:13], v[24:25], v[12:13], v[26:27]
	v_fma_f64 v[24:25], v[40:41], v[28:29], v[42:43]
	v_fma_f64 v[6:7], v[16:17], v[6:7], -v[50:51]
	v_fma_f64 v[10:11], v[20:21], v[10:11], -v[48:49]
	v_fma_f64 v[8:9], v[20:21], v[8:9], v[22:23]
	v_add_f64 v[26:27], v[30:31], v[14:15]
	v_fma_f64 v[28:29], v[32:33], v[38:39], -v[44:45]
	v_fma_f64 v[20:21], v[32:33], v[36:37], v[34:35]
	v_fma_f64 v[4:5], v[16:17], v[4:5], v[18:19]
	v_add_f64 v[16:17], v[24:25], v[12:13]
	v_add_f64 v[18:19], v[12:13], -v[24:25]
	s_mov_b32 s0, 0xe8584caa
	s_mov_b32 s1, 0xbfebb67a
	v_fma_f64 v[22:23], v[26:27], -0.5, v[6:7]
	s_mov_b32 s9, 0x3febb67a
	s_mov_b32 s8, s0
	v_add_f64 v[26:27], v[10:11], v[28:29]
	v_add_f64 v[34:35], v[14:15], -v[30:31]
	v_fma_f64 v[16:17], v[16:17], -0.5, v[4:5]
	v_add_f64 v[38:39], v[2:3], v[10:11]
	v_add_f64 v[6:7], v[14:15], v[6:7]
	v_fma_f64 v[36:37], v[18:19], s[0:1], v[22:23]
	v_add_f64 v[14:15], v[8:9], v[20:21]
	v_fma_f64 v[18:19], v[18:19], s[8:9], v[22:23]
	v_add_f64 v[32:33], v[8:9], -v[20:21]
	v_add_f64 v[8:9], v[0:1], v[8:9]
	v_add_f64 v[4:5], v[12:13], v[4:5]
	v_add_f64 v[10:11], v[10:11], -v[28:29]
	v_fma_f64 v[2:3], v[26:27], -0.5, v[2:3]
	v_fma_f64 v[22:23], v[34:35], s[8:9], v[16:17]
	v_add_f64 v[12:13], v[38:39], v[28:29]
	v_fma_f64 v[16:17], v[34:35], s[0:1], v[16:17]
	v_mul_f64 v[28:29], v[18:19], 0.5
	v_fma_f64 v[0:1], v[14:15], -0.5, v[0:1]
	v_add_f64 v[30:31], v[30:31], v[6:7]
	v_mul_f64 v[6:7], v[18:19], s[0:1]
	v_mul_f64 v[26:27], v[36:37], -0.5
	v_mul_f64 v[18:19], v[36:37], s[0:1]
	v_add_f64 v[8:9], v[8:9], v[20:21]
	v_add_f64 v[4:5], v[24:25], v[4:5]
	v_fma_f64 v[14:15], v[32:33], s[0:1], v[2:3]
	v_fma_f64 v[32:33], v[32:33], s[8:9], v[2:3]
	;; [unrolled: 1-line block ×5, first 2 shown]
	v_fma_f64 v[24:25], v[16:17], 0.5, v[6:7]
	v_fma_f64 v[26:27], v[22:23], s[8:9], v[26:27]
	v_fma_f64 v[36:37], v[22:23], -0.5, v[18:19]
	v_add_f64 v[22:23], v[12:13], v[30:31]
	v_add_f64 v[20:21], v[8:9], v[4:5]
	;; [unrolled: 1-line block ×3, first 2 shown]
	v_add_f64 v[10:11], v[12:13], -v[30:31]
	v_add_f64 v[8:9], v[8:9], -v[4:5]
	v_add_f64 v[16:17], v[0:1], v[24:25]
	v_add_f64 v[2:3], v[14:15], -v[26:27]
	v_add_f64 v[14:15], v[14:15], v[26:27]
	v_add_f64 v[12:13], v[34:35], v[36:37]
	v_add_f64 v[6:7], v[32:33], -v[28:29]
	v_add_f64 v[4:5], v[0:1], -v[24:25]
	;; [unrolled: 1-line block ×3, first 2 shown]
	v_lshl_add_u32 v24, v88, 4, v86
	ds_write_b128 v24, v[20:23]
	ds_write_b128 v24, v[16:19] offset:640
	ds_write_b128 v24, v[12:15] offset:1280
	;; [unrolled: 1-line block ×5, first 2 shown]
.LBB0_21:
	s_or_b64 exec, exec, s[2:3]
	s_waitcnt lgkmcnt(0)
	s_barrier
	s_and_b64 exec, exec, vcc
	s_cbranch_execz .LBB0_23
; %bb.22:
	global_load_dwordx4 v[0:3], v86, s[14:15]
	global_load_dwordx4 v[4:7], v86, s[14:15] offset:480
	global_load_dwordx4 v[8:11], v86, s[14:15] offset:960
	;; [unrolled: 1-line block ×7, first 2 shown]
	v_mad_u64_u32 v[64:65], s[0:1], s6, v68, 0
	v_mad_u64_u32 v[66:67], s[2:3], s4, v85, 0
	s_mul_i32 s2, s5, 0x1e0
	s_mul_hi_u32 s3, s4, 0x1e0
	s_add_i32 s6, s3, s2
	v_mad_u64_u32 v[68:69], s[2:3], s7, v68, v[65:66]
	v_mov_b32_e32 v71, s13
	s_mulk_i32 s4, 0x1e0
	v_mad_u64_u32 v[69:70], s[2:3], s5, v85, v[67:68]
	v_mov_b32_e32 v65, v68
	v_lshlrev_b64 v[64:65], 4, v[64:65]
	v_mov_b32_e32 v67, v69
	v_lshlrev_b64 v[66:67], 4, v[66:67]
	v_add_co_u32_e32 v64, vcc, s12, v64
	v_addc_co_u32_e32 v65, vcc, v71, v65, vcc
	v_add_co_u32_e32 v64, vcc, v64, v66
	v_addc_co_u32_e32 v65, vcc, v65, v67, vcc
	v_mov_b32_e32 v72, s6
	v_add_co_u32_e32 v66, vcc, s4, v64
	v_addc_co_u32_e32 v67, vcc, v65, v72, vcc
	v_lshl_add_u32 v32, v85, 4, v87
	v_mov_b32_e32 v73, s6
	v_add_co_u32_e32 v68, vcc, s4, v66
	v_add_u32_e32 v60, v87, v86
	ds_read_b128 v[32:35], v32
	ds_read_b128 v[36:39], v60 offset:480
	v_addc_co_u32_e32 v69, vcc, v67, v73, vcc
	v_mov_b32_e32 v74, s6
	v_add_co_u32_e32 v70, vcc, s4, v68
	v_addc_co_u32_e32 v71, vcc, v69, v74, vcc
	v_mov_b32_e32 v75, s6
	v_add_co_u32_e32 v72, vcc, s4, v70
	v_addc_co_u32_e32 v73, vcc, v71, v75, vcc
	ds_read_b128 v[40:43], v60 offset:960
	ds_read_b128 v[44:47], v60 offset:1440
	;; [unrolled: 1-line block ×6, first 2 shown]
	s_mov_b32 s0, 0x11111111
	s_mov_b32 s1, 0x3f711111
	s_waitcnt vmcnt(7) lgkmcnt(7)
	v_mul_f64 v[74:75], v[34:35], v[2:3]
	v_mul_f64 v[2:3], v[32:33], v[2:3]
	s_waitcnt vmcnt(6) lgkmcnt(6)
	v_mul_f64 v[76:77], v[38:39], v[6:7]
	v_mul_f64 v[6:7], v[36:37], v[6:7]
	;; [unrolled: 3-line block ×4, first 2 shown]
	v_fma_f64 v[32:33], v[32:33], v[0:1], v[74:75]
	v_fma_f64 v[2:3], v[0:1], v[34:35], -v[2:3]
	v_fma_f64 v[34:35], v[36:37], v[4:5], v[76:77]
	v_fma_f64 v[6:7], v[4:5], v[38:39], -v[6:7]
	v_fma_f64 v[36:37], v[40:41], v[8:9], v[78:79]
	v_fma_f64 v[10:11], v[8:9], v[42:43], -v[10:11]
	v_fma_f64 v[38:39], v[44:45], v[12:13], v[80:81]
	v_fma_f64 v[14:15], v[12:13], v[46:47], -v[14:15]
	s_waitcnt vmcnt(3) lgkmcnt(3)
	v_mul_f64 v[82:83], v[50:51], v[18:19]
	v_mul_f64 v[18:19], v[48:49], v[18:19]
	s_waitcnt vmcnt(2) lgkmcnt(2)
	v_mul_f64 v[84:85], v[54:55], v[22:23]
	v_mul_f64 v[22:23], v[52:53], v[22:23]
	;; [unrolled: 1-line block ×10, first 2 shown]
	v_fma_f64 v[40:41], v[48:49], v[16:17], v[82:83]
	v_fma_f64 v[18:19], v[16:17], v[50:51], -v[18:19]
	v_fma_f64 v[32:33], v[52:53], v[20:21], v[84:85]
	v_fma_f64 v[20:21], v[20:21], v[54:55], -v[22:23]
	global_store_dwordx4 v[64:65], v[0:3], off
	global_store_dwordx4 v[66:67], v[4:7], off
	;; [unrolled: 1-line block ×4, first 2 shown]
	s_waitcnt vmcnt(5) lgkmcnt(1)
	v_mul_f64 v[4:5], v[58:59], v[26:27]
	v_mul_f64 v[6:7], v[56:57], v[26:27]
	s_waitcnt vmcnt(4) lgkmcnt(0)
	v_mul_f64 v[8:9], v[62:63], v[30:31]
	v_mul_f64 v[10:11], v[60:61], v[30:31]
	;; [unrolled: 1-line block ×6, first 2 shown]
	v_fma_f64 v[4:5], v[56:57], v[24:25], v[4:5]
	v_fma_f64 v[6:7], v[24:25], v[58:59], -v[6:7]
	v_fma_f64 v[8:9], v[60:61], v[28:29], v[8:9]
	v_fma_f64 v[10:11], v[28:29], v[62:63], -v[10:11]
	v_mov_b32_e32 v13, s6
	v_add_co_u32_e32 v12, vcc, s4, v72
	v_addc_co_u32_e32 v13, vcc, v73, v13, vcc
	global_store_dwordx4 v[72:73], v[16:19], off
	global_store_dwordx4 v[12:13], v[0:3], off
	v_mov_b32_e32 v14, s6
	v_mul_f64 v[0:1], v[4:5], s[0:1]
	v_mul_f64 v[2:3], v[6:7], s[0:1]
	;; [unrolled: 1-line block ×4, first 2 shown]
	v_add_co_u32_e32 v8, vcc, s4, v12
	v_addc_co_u32_e32 v9, vcc, v13, v14, vcc
	global_store_dwordx4 v[8:9], v[0:3], off
	s_nop 0
	v_mov_b32_e32 v1, s6
	v_add_co_u32_e32 v0, vcc, s4, v8
	v_addc_co_u32_e32 v1, vcc, v9, v1, vcc
	global_store_dwordx4 v[0:1], v[4:7], off
.LBB0_23:
	s_endpgm
	.section	.rodata,"a",@progbits
	.p2align	6, 0x0
	.amdhsa_kernel bluestein_single_back_len240_dim1_dp_op_CI_CI
		.amdhsa_group_segment_fixed_size 7680
		.amdhsa_private_segment_fixed_size 0
		.amdhsa_kernarg_size 104
		.amdhsa_user_sgpr_count 6
		.amdhsa_user_sgpr_private_segment_buffer 1
		.amdhsa_user_sgpr_dispatch_ptr 0
		.amdhsa_user_sgpr_queue_ptr 0
		.amdhsa_user_sgpr_kernarg_segment_ptr 1
		.amdhsa_user_sgpr_dispatch_id 0
		.amdhsa_user_sgpr_flat_scratch_init 0
		.amdhsa_user_sgpr_private_segment_size 0
		.amdhsa_uses_dynamic_stack 0
		.amdhsa_system_sgpr_private_segment_wavefront_offset 0
		.amdhsa_system_sgpr_workgroup_id_x 1
		.amdhsa_system_sgpr_workgroup_id_y 0
		.amdhsa_system_sgpr_workgroup_id_z 0
		.amdhsa_system_sgpr_workgroup_info 0
		.amdhsa_system_vgpr_workitem_id 0
		.amdhsa_next_free_vgpr 96
		.amdhsa_next_free_sgpr 20
		.amdhsa_reserve_vcc 1
		.amdhsa_reserve_flat_scratch 0
		.amdhsa_float_round_mode_32 0
		.amdhsa_float_round_mode_16_64 0
		.amdhsa_float_denorm_mode_32 3
		.amdhsa_float_denorm_mode_16_64 3
		.amdhsa_dx10_clamp 1
		.amdhsa_ieee_mode 1
		.amdhsa_fp16_overflow 0
		.amdhsa_exception_fp_ieee_invalid_op 0
		.amdhsa_exception_fp_denorm_src 0
		.amdhsa_exception_fp_ieee_div_zero 0
		.amdhsa_exception_fp_ieee_overflow 0
		.amdhsa_exception_fp_ieee_underflow 0
		.amdhsa_exception_fp_ieee_inexact 0
		.amdhsa_exception_int_div_zero 0
	.end_amdhsa_kernel
	.text
.Lfunc_end0:
	.size	bluestein_single_back_len240_dim1_dp_op_CI_CI, .Lfunc_end0-bluestein_single_back_len240_dim1_dp_op_CI_CI
                                        ; -- End function
	.section	.AMDGPU.csdata,"",@progbits
; Kernel info:
; codeLenInByte = 6672
; NumSgprs: 24
; NumVgprs: 96
; ScratchSize: 0
; MemoryBound: 0
; FloatMode: 240
; IeeeMode: 1
; LDSByteSize: 7680 bytes/workgroup (compile time only)
; SGPRBlocks: 2
; VGPRBlocks: 23
; NumSGPRsForWavesPerEU: 24
; NumVGPRsForWavesPerEU: 96
; Occupancy: 2
; WaveLimiterHint : 1
; COMPUTE_PGM_RSRC2:SCRATCH_EN: 0
; COMPUTE_PGM_RSRC2:USER_SGPR: 6
; COMPUTE_PGM_RSRC2:TRAP_HANDLER: 0
; COMPUTE_PGM_RSRC2:TGID_X_EN: 1
; COMPUTE_PGM_RSRC2:TGID_Y_EN: 0
; COMPUTE_PGM_RSRC2:TGID_Z_EN: 0
; COMPUTE_PGM_RSRC2:TIDIG_COMP_CNT: 0
	.type	__hip_cuid_a6d53c1099f85830,@object ; @__hip_cuid_a6d53c1099f85830
	.section	.bss,"aw",@nobits
	.globl	__hip_cuid_a6d53c1099f85830
__hip_cuid_a6d53c1099f85830:
	.byte	0                               ; 0x0
	.size	__hip_cuid_a6d53c1099f85830, 1

	.ident	"AMD clang version 19.0.0git (https://github.com/RadeonOpenCompute/llvm-project roc-6.4.0 25133 c7fe45cf4b819c5991fe208aaa96edf142730f1d)"
	.section	".note.GNU-stack","",@progbits
	.addrsig
	.addrsig_sym __hip_cuid_a6d53c1099f85830
	.amdgpu_metadata
---
amdhsa.kernels:
  - .args:
      - .actual_access:  read_only
        .address_space:  global
        .offset:         0
        .size:           8
        .value_kind:     global_buffer
      - .actual_access:  read_only
        .address_space:  global
        .offset:         8
        .size:           8
        .value_kind:     global_buffer
      - .actual_access:  read_only
        .address_space:  global
        .offset:         16
        .size:           8
        .value_kind:     global_buffer
      - .actual_access:  read_only
        .address_space:  global
        .offset:         24
        .size:           8
        .value_kind:     global_buffer
      - .actual_access:  read_only
        .address_space:  global
        .offset:         32
        .size:           8
        .value_kind:     global_buffer
      - .offset:         40
        .size:           8
        .value_kind:     by_value
      - .address_space:  global
        .offset:         48
        .size:           8
        .value_kind:     global_buffer
      - .address_space:  global
        .offset:         56
        .size:           8
        .value_kind:     global_buffer
      - .address_space:  global
        .offset:         64
        .size:           8
        .value_kind:     global_buffer
      - .address_space:  global
        .offset:         72
        .size:           8
        .value_kind:     global_buffer
      - .offset:         80
        .size:           4
        .value_kind:     by_value
      - .address_space:  global
        .offset:         88
        .size:           8
        .value_kind:     global_buffer
      - .address_space:  global
        .offset:         96
        .size:           8
        .value_kind:     global_buffer
    .group_segment_fixed_size: 7680
    .kernarg_segment_align: 8
    .kernarg_segment_size: 104
    .language:       OpenCL C
    .language_version:
      - 2
      - 0
    .max_flat_workgroup_size: 96
    .name:           bluestein_single_back_len240_dim1_dp_op_CI_CI
    .private_segment_fixed_size: 0
    .sgpr_count:     24
    .sgpr_spill_count: 0
    .symbol:         bluestein_single_back_len240_dim1_dp_op_CI_CI.kd
    .uniform_work_group_size: 1
    .uses_dynamic_stack: false
    .vgpr_count:     96
    .vgpr_spill_count: 0
    .wavefront_size: 64
amdhsa.target:   amdgcn-amd-amdhsa--gfx906
amdhsa.version:
  - 1
  - 2
...

	.end_amdgpu_metadata
